;; amdgpu-corpus repo=ROCm/rocFFT kind=compiled arch=gfx906 opt=O3
	.text
	.amdgcn_target "amdgcn-amd-amdhsa--gfx906"
	.amdhsa_code_object_version 6
	.protected	fft_rtc_back_len672_factors_2_2_2_2_2_3_7_wgs_56_tpt_56_halfLds_sp_ip_CI_sbrr_dirReg ; -- Begin function fft_rtc_back_len672_factors_2_2_2_2_2_3_7_wgs_56_tpt_56_halfLds_sp_ip_CI_sbrr_dirReg
	.globl	fft_rtc_back_len672_factors_2_2_2_2_2_3_7_wgs_56_tpt_56_halfLds_sp_ip_CI_sbrr_dirReg
	.p2align	8
	.type	fft_rtc_back_len672_factors_2_2_2_2_2_3_7_wgs_56_tpt_56_halfLds_sp_ip_CI_sbrr_dirReg,@function
fft_rtc_back_len672_factors_2_2_2_2_2_3_7_wgs_56_tpt_56_halfLds_sp_ip_CI_sbrr_dirReg: ; @fft_rtc_back_len672_factors_2_2_2_2_2_3_7_wgs_56_tpt_56_halfLds_sp_ip_CI_sbrr_dirReg
; %bb.0:
	s_load_dwordx2 s[14:15], s[4:5], 0x18
	s_load_dwordx4 s[8:11], s[4:5], 0x0
	s_load_dwordx2 s[12:13], s[4:5], 0x50
	v_mul_u32_u24_e32 v1, 0x493, v0
	v_add_u32_sdwa v5, s6, v1 dst_sel:DWORD dst_unused:UNUSED_PAD src0_sel:DWORD src1_sel:WORD_1
	s_waitcnt lgkmcnt(0)
	s_load_dwordx2 s[2:3], s[14:15], 0x0
	v_cmp_lt_u64_e64 s[0:1], s[10:11], 2
	v_mov_b32_e32 v3, 0
	v_mov_b32_e32 v1, 0
	;; [unrolled: 1-line block ×3, first 2 shown]
	s_and_b64 vcc, exec, s[0:1]
	v_mov_b32_e32 v2, 0
	s_cbranch_vccnz .LBB0_8
; %bb.1:
	s_load_dwordx2 s[0:1], s[4:5], 0x10
	s_add_u32 s6, s14, 8
	s_addc_u32 s7, s15, 0
	v_mov_b32_e32 v1, 0
	v_mov_b32_e32 v2, 0
	s_waitcnt lgkmcnt(0)
	s_add_u32 s16, s0, 8
	s_addc_u32 s17, s1, 0
	s_mov_b64 s[18:19], 1
.LBB0_2:                                ; =>This Inner Loop Header: Depth=1
	s_load_dwordx2 s[20:21], s[16:17], 0x0
                                        ; implicit-def: $vgpr7_vgpr8
	s_waitcnt lgkmcnt(0)
	v_or_b32_e32 v4, s21, v6
	v_cmp_ne_u64_e32 vcc, 0, v[3:4]
	s_and_saveexec_b64 s[0:1], vcc
	s_xor_b64 s[22:23], exec, s[0:1]
	s_cbranch_execz .LBB0_4
; %bb.3:                                ;   in Loop: Header=BB0_2 Depth=1
	v_cvt_f32_u32_e32 v4, s20
	v_cvt_f32_u32_e32 v7, s21
	s_sub_u32 s0, 0, s20
	s_subb_u32 s1, 0, s21
	v_mac_f32_e32 v4, 0x4f800000, v7
	v_rcp_f32_e32 v4, v4
	v_mul_f32_e32 v4, 0x5f7ffffc, v4
	v_mul_f32_e32 v7, 0x2f800000, v4
	v_trunc_f32_e32 v7, v7
	v_mac_f32_e32 v4, 0xcf800000, v7
	v_cvt_u32_f32_e32 v7, v7
	v_cvt_u32_f32_e32 v4, v4
	v_mul_lo_u32 v8, s0, v7
	v_mul_hi_u32 v9, s0, v4
	v_mul_lo_u32 v11, s1, v4
	v_mul_lo_u32 v10, s0, v4
	v_add_u32_e32 v8, v9, v8
	v_add_u32_e32 v8, v8, v11
	v_mul_hi_u32 v9, v4, v10
	v_mul_lo_u32 v11, v4, v8
	v_mul_hi_u32 v13, v4, v8
	v_mul_hi_u32 v12, v7, v10
	v_mul_lo_u32 v10, v7, v10
	v_mul_hi_u32 v14, v7, v8
	v_add_co_u32_e32 v9, vcc, v9, v11
	v_addc_co_u32_e32 v11, vcc, 0, v13, vcc
	v_mul_lo_u32 v8, v7, v8
	v_add_co_u32_e32 v9, vcc, v9, v10
	v_addc_co_u32_e32 v9, vcc, v11, v12, vcc
	v_addc_co_u32_e32 v10, vcc, 0, v14, vcc
	v_add_co_u32_e32 v8, vcc, v9, v8
	v_addc_co_u32_e32 v9, vcc, 0, v10, vcc
	v_add_co_u32_e32 v4, vcc, v4, v8
	v_addc_co_u32_e32 v7, vcc, v7, v9, vcc
	v_mul_lo_u32 v8, s0, v7
	v_mul_hi_u32 v9, s0, v4
	v_mul_lo_u32 v10, s1, v4
	v_mul_lo_u32 v11, s0, v4
	v_add_u32_e32 v8, v9, v8
	v_add_u32_e32 v8, v8, v10
	v_mul_lo_u32 v12, v4, v8
	v_mul_hi_u32 v13, v4, v11
	v_mul_hi_u32 v14, v4, v8
	;; [unrolled: 1-line block ×3, first 2 shown]
	v_mul_lo_u32 v11, v7, v11
	v_mul_hi_u32 v9, v7, v8
	v_add_co_u32_e32 v12, vcc, v13, v12
	v_addc_co_u32_e32 v13, vcc, 0, v14, vcc
	v_mul_lo_u32 v8, v7, v8
	v_add_co_u32_e32 v11, vcc, v12, v11
	v_addc_co_u32_e32 v10, vcc, v13, v10, vcc
	v_addc_co_u32_e32 v9, vcc, 0, v9, vcc
	v_add_co_u32_e32 v8, vcc, v10, v8
	v_addc_co_u32_e32 v9, vcc, 0, v9, vcc
	v_add_co_u32_e32 v4, vcc, v4, v8
	v_addc_co_u32_e32 v9, vcc, v7, v9, vcc
	v_mad_u64_u32 v[7:8], s[0:1], v5, v9, 0
	v_mul_hi_u32 v10, v5, v4
	v_add_co_u32_e32 v11, vcc, v10, v7
	v_addc_co_u32_e32 v12, vcc, 0, v8, vcc
	v_mad_u64_u32 v[7:8], s[0:1], v6, v4, 0
	v_mad_u64_u32 v[9:10], s[0:1], v6, v9, 0
	v_add_co_u32_e32 v4, vcc, v11, v7
	v_addc_co_u32_e32 v4, vcc, v12, v8, vcc
	v_addc_co_u32_e32 v7, vcc, 0, v10, vcc
	v_add_co_u32_e32 v4, vcc, v4, v9
	v_addc_co_u32_e32 v9, vcc, 0, v7, vcc
	v_mul_lo_u32 v10, s21, v4
	v_mul_lo_u32 v11, s20, v9
	v_mad_u64_u32 v[7:8], s[0:1], s20, v4, 0
	v_add3_u32 v8, v8, v11, v10
	v_sub_u32_e32 v10, v6, v8
	v_mov_b32_e32 v11, s21
	v_sub_co_u32_e32 v7, vcc, v5, v7
	v_subb_co_u32_e64 v10, s[0:1], v10, v11, vcc
	v_subrev_co_u32_e64 v11, s[0:1], s20, v7
	v_subbrev_co_u32_e64 v10, s[0:1], 0, v10, s[0:1]
	v_cmp_le_u32_e64 s[0:1], s21, v10
	v_cndmask_b32_e64 v12, 0, -1, s[0:1]
	v_cmp_le_u32_e64 s[0:1], s20, v11
	v_cndmask_b32_e64 v11, 0, -1, s[0:1]
	v_cmp_eq_u32_e64 s[0:1], s21, v10
	v_cndmask_b32_e64 v10, v12, v11, s[0:1]
	v_add_co_u32_e64 v11, s[0:1], 2, v4
	v_addc_co_u32_e64 v12, s[0:1], 0, v9, s[0:1]
	v_add_co_u32_e64 v13, s[0:1], 1, v4
	v_addc_co_u32_e64 v14, s[0:1], 0, v9, s[0:1]
	v_subb_co_u32_e32 v8, vcc, v6, v8, vcc
	v_cmp_ne_u32_e64 s[0:1], 0, v10
	v_cmp_le_u32_e32 vcc, s21, v8
	v_cndmask_b32_e64 v10, v14, v12, s[0:1]
	v_cndmask_b32_e64 v12, 0, -1, vcc
	v_cmp_le_u32_e32 vcc, s20, v7
	v_cndmask_b32_e64 v7, 0, -1, vcc
	v_cmp_eq_u32_e32 vcc, s21, v8
	v_cndmask_b32_e32 v7, v12, v7, vcc
	v_cmp_ne_u32_e32 vcc, 0, v7
	v_cndmask_b32_e64 v7, v13, v11, s[0:1]
	v_cndmask_b32_e32 v8, v9, v10, vcc
	v_cndmask_b32_e32 v7, v4, v7, vcc
.LBB0_4:                                ;   in Loop: Header=BB0_2 Depth=1
	s_andn2_saveexec_b64 s[0:1], s[22:23]
	s_cbranch_execz .LBB0_6
; %bb.5:                                ;   in Loop: Header=BB0_2 Depth=1
	v_cvt_f32_u32_e32 v4, s20
	s_sub_i32 s22, 0, s20
	v_rcp_iflag_f32_e32 v4, v4
	v_mul_f32_e32 v4, 0x4f7ffffe, v4
	v_cvt_u32_f32_e32 v4, v4
	v_mul_lo_u32 v7, s22, v4
	v_mul_hi_u32 v7, v4, v7
	v_add_u32_e32 v4, v4, v7
	v_mul_hi_u32 v4, v5, v4
	v_mul_lo_u32 v7, v4, s20
	v_add_u32_e32 v8, 1, v4
	v_sub_u32_e32 v7, v5, v7
	v_subrev_u32_e32 v9, s20, v7
	v_cmp_le_u32_e32 vcc, s20, v7
	v_cndmask_b32_e32 v7, v7, v9, vcc
	v_cndmask_b32_e32 v4, v4, v8, vcc
	v_add_u32_e32 v8, 1, v4
	v_cmp_le_u32_e32 vcc, s20, v7
	v_cndmask_b32_e32 v7, v4, v8, vcc
	v_mov_b32_e32 v8, v3
.LBB0_6:                                ;   in Loop: Header=BB0_2 Depth=1
	s_or_b64 exec, exec, s[0:1]
	v_mul_lo_u32 v4, v8, s20
	v_mul_lo_u32 v11, v7, s21
	v_mad_u64_u32 v[9:10], s[0:1], v7, s20, 0
	s_load_dwordx2 s[0:1], s[6:7], 0x0
	s_add_u32 s18, s18, 1
	v_add3_u32 v4, v10, v11, v4
	v_sub_co_u32_e32 v5, vcc, v5, v9
	v_subb_co_u32_e32 v4, vcc, v6, v4, vcc
	s_waitcnt lgkmcnt(0)
	v_mul_lo_u32 v4, s0, v4
	v_mul_lo_u32 v6, s1, v5
	v_mad_u64_u32 v[1:2], s[0:1], s0, v5, v[1:2]
	s_addc_u32 s19, s19, 0
	s_add_u32 s6, s6, 8
	v_add3_u32 v2, v6, v2, v4
	v_mov_b32_e32 v4, s10
	v_mov_b32_e32 v5, s11
	s_addc_u32 s7, s7, 0
	v_cmp_ge_u64_e32 vcc, s[18:19], v[4:5]
	s_add_u32 s16, s16, 8
	s_addc_u32 s17, s17, 0
	s_cbranch_vccnz .LBB0_9
; %bb.7:                                ;   in Loop: Header=BB0_2 Depth=1
	v_mov_b32_e32 v5, v7
	v_mov_b32_e32 v6, v8
	s_branch .LBB0_2
.LBB0_8:
	v_mov_b32_e32 v8, v6
	v_mov_b32_e32 v7, v5
.LBB0_9:
	s_lshl_b64 s[0:1], s[10:11], 3
	s_add_u32 s0, s14, s0
	s_addc_u32 s1, s15, s1
	s_load_dwordx2 s[6:7], s[0:1], 0x0
	s_load_dwordx2 s[10:11], s[4:5], 0x20
                                        ; implicit-def: $vgpr27
                                        ; implicit-def: $vgpr28
                                        ; implicit-def: $vgpr29
                                        ; implicit-def: $vgpr31
                                        ; implicit-def: $vgpr30
	s_waitcnt lgkmcnt(0)
	v_mad_u64_u32 v[1:2], s[0:1], s6, v7, v[1:2]
	s_mov_b32 s0, 0x4924925
	v_mul_lo_u32 v3, s6, v8
	v_mul_lo_u32 v4, s7, v7
	v_mul_hi_u32 v5, v0, s0
	v_cmp_gt_u64_e32 vcc, s[10:11], v[7:8]
	v_cmp_le_u64_e64 s[0:1], s[10:11], v[7:8]
	v_add3_u32 v2, v4, v2, v3
	v_mul_u32_u24_e32 v3, 56, v5
	v_sub_u32_e32 v26, v0, v3
                                        ; implicit-def: $sgpr6_sgpr7
	s_and_saveexec_b64 s[4:5], s[0:1]
	s_xor_b64 s[0:1], exec, s[4:5]
; %bb.10:
	v_add_u32_e32 v27, 56, v26
	v_add_u32_e32 v28, 0x70, v26
	;; [unrolled: 1-line block ×5, first 2 shown]
	s_mov_b64 s[6:7], 0
; %bb.11:
	s_or_saveexec_b64 s[4:5], s[0:1]
	v_mov_b32_e32 v23, s7
	v_lshlrev_b64 v[0:1], 3, v[1:2]
	v_mov_b32_e32 v17, s7
	v_mov_b32_e32 v21, s7
	;; [unrolled: 1-line block ×11, first 2 shown]
                                        ; implicit-def: $vgpr25
                                        ; implicit-def: $vgpr5
                                        ; implicit-def: $vgpr3
                                        ; implicit-def: $vgpr7
                                        ; implicit-def: $vgpr9
                                        ; implicit-def: $vgpr13
	s_xor_b64 exec, exec, s[4:5]
	s_cbranch_execz .LBB0_13
; %bb.12:
	v_mad_u64_u32 v[2:3], s[0:1], s2, v26, 0
	v_add_u32_e32 v7, 0x150, v26
	v_mov_b32_e32 v6, s13
	v_mad_u64_u32 v[3:4], s[0:1], s3, v26, v[3:4]
	v_mad_u64_u32 v[4:5], s[0:1], s2, v7, 0
	v_add_co_u32_e64 v10, s[0:1], s12, v0
	v_addc_co_u32_e64 v11, s[0:1], v6, v1, s[0:1]
	v_mad_u64_u32 v[5:6], s[0:1], s3, v7, v[5:6]
	v_add_u32_e32 v27, 56, v26
	v_mad_u64_u32 v[6:7], s[0:1], s2, v27, 0
	v_lshlrev_b64 v[2:3], 3, v[2:3]
	v_add_u32_e32 v28, 0x70, v26
	v_add_co_u32_e64 v32, s[0:1], v10, v2
	v_addc_co_u32_e64 v33, s[0:1], v11, v3, s[0:1]
	v_lshlrev_b64 v[2:3], 3, v[4:5]
	v_mov_b32_e32 v4, v7
	v_mad_u64_u32 v[4:5], s[0:1], s3, v27, v[4:5]
	v_add_u32_e32 v5, 0x188, v26
	v_mad_u64_u32 v[8:9], s[0:1], s2, v5, 0
	v_add_co_u32_e64 v34, s[0:1], v10, v2
	v_mov_b32_e32 v7, v4
	v_mov_b32_e32 v4, v9
	v_addc_co_u32_e64 v35, s[0:1], v11, v3, s[0:1]
	v_mad_u64_u32 v[4:5], s[0:1], s3, v5, v[4:5]
	v_lshlrev_b64 v[2:3], 3, v[6:7]
	v_mad_u64_u32 v[5:6], s[0:1], s2, v28, 0
	v_add_co_u32_e64 v36, s[0:1], v10, v2
	v_mov_b32_e32 v9, v4
	v_mov_b32_e32 v4, v6
	v_addc_co_u32_e64 v37, s[0:1], v11, v3, s[0:1]
	v_lshlrev_b64 v[2:3], 3, v[8:9]
	v_mad_u64_u32 v[6:7], s[0:1], s3, v28, v[4:5]
	v_or_b32_e32 v9, 0x1c0, v26
	v_mad_u64_u32 v[7:8], s[0:1], s2, v9, 0
	v_add_co_u32_e64 v38, s[0:1], v10, v2
	v_mov_b32_e32 v4, v8
	v_addc_co_u32_e64 v39, s[0:1], v11, v3, s[0:1]
	v_lshlrev_b64 v[2:3], 3, v[5:6]
	v_mad_u64_u32 v[4:5], s[0:1], s3, v9, v[4:5]
	v_add_u32_e32 v29, 0xa8, v26
	v_mad_u64_u32 v[5:6], s[0:1], s2, v29, 0
	v_add_co_u32_e64 v40, s[0:1], v10, v2
	v_mov_b32_e32 v8, v4
	v_mov_b32_e32 v4, v6
	v_addc_co_u32_e64 v41, s[0:1], v11, v3, s[0:1]
	v_lshlrev_b64 v[2:3], 3, v[7:8]
	v_mad_u64_u32 v[6:7], s[0:1], s3, v29, v[4:5]
	v_add_u32_e32 v9, 0x1f8, v26
	v_mad_u64_u32 v[7:8], s[0:1], s2, v9, 0
	v_add_co_u32_e64 v42, s[0:1], v10, v2
	v_mov_b32_e32 v4, v8
	v_addc_co_u32_e64 v43, s[0:1], v11, v3, s[0:1]
	v_lshlrev_b64 v[2:3], 3, v[5:6]
	v_mad_u64_u32 v[4:5], s[0:1], s3, v9, v[4:5]
	v_add_u32_e32 v31, 0xe0, v26
	v_mad_u64_u32 v[5:6], s[0:1], s2, v31, 0
	v_add_co_u32_e64 v44, s[0:1], v10, v2
	v_mov_b32_e32 v8, v4
	v_mov_b32_e32 v4, v6
	v_addc_co_u32_e64 v45, s[0:1], v11, v3, s[0:1]
	v_lshlrev_b64 v[2:3], 3, v[7:8]
	v_mad_u64_u32 v[6:7], s[0:1], s3, v31, v[4:5]
	v_add_u32_e32 v9, 0x230, v26
	;; [unrolled: 15-line block ×3, first 2 shown]
	v_mad_u64_u32 v[7:8], s[0:1], s2, v9, 0
	v_add_co_u32_e64 v50, s[0:1], v10, v2
	v_mov_b32_e32 v4, v8
	v_addc_co_u32_e64 v51, s[0:1], v11, v3, s[0:1]
	v_lshlrev_b64 v[2:3], 3, v[5:6]
	v_mad_u64_u32 v[4:5], s[0:1], s3, v9, v[4:5]
	v_add_co_u32_e64 v52, s[0:1], v10, v2
	v_mov_b32_e32 v8, v4
	v_addc_co_u32_e64 v53, s[0:1], v11, v3, s[0:1]
	v_lshlrev_b64 v[2:3], 3, v[7:8]
	v_add_co_u32_e64 v54, s[0:1], v10, v2
	v_addc_co_u32_e64 v55, s[0:1], v11, v3, s[0:1]
	global_load_dwordx2 v[22:23], v[32:33], off
	global_load_dwordx2 v[24:25], v[34:35], off
	;; [unrolled: 1-line block ×12, first 2 shown]
.LBB0_13:
	s_or_b64 exec, exec, s[4:5]
	s_waitcnt vmcnt(10)
	v_sub_f32_e32 v35, v23, v25
	v_sub_f32_e32 v33, v22, v24
	v_fma_f32 v34, v23, 2.0, -v35
	s_waitcnt vmcnt(8)
	v_sub_f32_e32 v23, v16, v12
	s_waitcnt vmcnt(6)
	v_sub_f32_e32 v25, v20, v8
	v_fma_f32 v32, v22, 2.0, -v33
	v_fma_f32 v22, v16, 2.0, -v23
	;; [unrolled: 1-line block ×3, first 2 shown]
	v_lshl_add_u32 v38, v26, 3, 0
	v_lshl_add_u32 v20, v27, 3, 0
	ds_write_b64 v38, v[32:33]
	s_waitcnt vmcnt(4)
	v_sub_f32_e32 v33, v18, v4
	ds_write_b64 v20, v[22:23]
	v_lshl_add_u32 v39, v28, 3, 0
	s_waitcnt vmcnt(2)
	v_sub_f32_e32 v23, v10, v2
	v_lshlrev_b32_e32 v2, 2, v26
	v_fma_f32 v32, v18, 2.0, -v33
	ds_write_b64 v39, v[24:25]
	v_fma_f32 v22, v10, 2.0, -v23
	v_lshl_add_u32 v25, v29, 3, 0
	v_lshl_add_u32 v40, v31, 3, 0
	v_sub_u32_e32 v12, v38, v2
	v_lshlrev_b32_e32 v2, 2, v28
	ds_write_b64 v25, v[32:33]
	ds_write_b64 v40, v[22:23]
	s_waitcnt vmcnt(0)
	v_sub_f32_e32 v23, v14, v6
	v_sub_u32_e32 v4, v39, v2
	v_lshlrev_b32_e32 v2, 2, v29
	v_fma_f32 v22, v14, 2.0, -v23
	v_sub_u32_e32 v14, v25, v2
	v_lshlrev_b32_e32 v2, 2, v31
	v_lshl_add_u32 v41, v30, 3, 0
	v_sub_u32_e32 v16, v40, v2
	v_lshlrev_b32_e32 v2, 2, v30
	v_lshlrev_b32_e32 v10, 2, v27
	v_sub_f32_e32 v18, v17, v13
	ds_write_b64 v41, v[22:23]
	s_waitcnt lgkmcnt(0)
	; wave barrier
	s_waitcnt lgkmcnt(0)
	v_sub_u32_e32 v2, v41, v2
	v_add_u32_e32 v24, 0x400, v12
	v_sub_u32_e32 v8, v20, v10
	v_add_u32_e32 v6, 0x800, v12
	ds_read_b32 v42, v12
	ds_read_b32 v43, v8
	;; [unrolled: 1-line block ×6, first 2 shown]
	ds_read2_b32 v[22:23], v24 offset0:80 offset1:136
	ds_read2_b32 v[32:33], v24 offset0:192 offset1:248
	;; [unrolled: 1-line block ×3, first 2 shown]
	s_waitcnt lgkmcnt(0)
	; wave barrier
	s_waitcnt lgkmcnt(0)
	ds_write_b64 v38, v[34:35]
	v_fma_f32 v17, v17, 2.0, -v18
	v_sub_f32_e32 v35, v21, v9
	v_fma_f32 v34, v21, 2.0, -v35
	ds_write_b64 v20, v[17:18]
	ds_write_b64 v39, v[34:35]
	v_sub_f32_e32 v18, v19, v5
	v_fma_f32 v17, v19, 2.0, -v18
	v_sub_f32_e32 v35, v15, v7
	ds_write_b64 v25, v[17:18]
	v_sub_f32_e32 v18, v11, v3
	v_fma_f32 v34, v15, 2.0, -v35
	v_and_b32_e32 v15, 1, v26
	v_fma_f32 v17, v11, 2.0, -v18
	v_lshlrev_b32_e32 v3, 3, v15
	ds_write_b64 v40, v[17:18]
	ds_write_b64 v41, v[34:35]
	s_waitcnt lgkmcnt(0)
	; wave barrier
	s_waitcnt lgkmcnt(0)
	global_load_dwordx2 v[17:18], v3, s[8:9]
	ds_read2_b32 v[34:35], v24 offset0:80 offset1:136
	ds_read2_b32 v[38:39], v24 offset0:192 offset1:248
	s_movk_i32 s0, 0x7c
	s_movk_i32 s1, 0xe0
	v_and_b32_e32 v57, 31, v29
	v_sub_u32_e32 v10, 0, v10
	s_waitcnt vmcnt(0) lgkmcnt(1)
	v_mul_f32_e32 v3, v34, v18
	v_mul_f32_e32 v5, v22, v18
	v_fmac_f32_e32 v3, v22, v17
	ds_read2_b32 v[21:22], v6 offset0:48 offset1:104
	v_fma_f32 v19, v34, v17, -v5
	v_mul_f32_e32 v5, v32, v18
	v_mul_f32_e32 v7, v35, v18
	v_mul_f32_e32 v9, v23, v18
	s_waitcnt lgkmcnt(1)
	v_fma_f32 v25, v38, v17, -v5
	v_mul_f32_e32 v5, v36, v18
	v_mul_f32_e32 v11, v38, v18
	v_fmac_f32_e32 v7, v23, v17
	v_fma_f32 v23, v35, v17, -v9
	v_mul_f32_e32 v9, v39, v18
	v_mul_f32_e32 v13, v33, v18
	s_waitcnt lgkmcnt(0)
	v_fma_f32 v35, v21, v17, -v5
	v_sub_f32_e32 v5, v42, v3
	v_lshlrev_b32_e32 v3, 1, v26
	v_fmac_f32_e32 v11, v32, v17
	v_fmac_f32_e32 v9, v33, v17
	v_fma_f32 v33, v39, v17, -v13
	v_mul_f32_e32 v32, v21, v18
	v_mul_f32_e32 v34, v22, v18
	v_mul_f32_e32 v13, v37, v18
	v_and_or_b32 v18, v3, s0, v15
	v_fmac_f32_e32 v32, v36, v17
	v_fma_f32 v36, v22, v17, -v13
	v_fma_f32 v13, v42, 2.0, -v5
	v_lshl_add_u32 v42, v18, 2, 0
	v_fmac_f32_e32 v34, v37, v17
	ds_read_b32 v17, v12
	ds_read_b32 v37, v8
	;; [unrolled: 1-line block ×6, first 2 shown]
	s_waitcnt lgkmcnt(0)
	; wave barrier
	s_waitcnt lgkmcnt(0)
	ds_write2_b32 v42, v13, v5 offset1:2
	v_sub_f32_e32 v5, v43, v7
	s_movk_i32 s0, 0xfc
	v_lshlrev_b32_e32 v7, 1, v27
	v_and_or_b32 v18, v7, s0, v15
	v_fma_f32 v13, v43, 2.0, -v5
	v_lshl_add_u32 v43, v18, 2, 0
	ds_write2_b32 v43, v13, v5 offset1:2
	s_movk_i32 s0, 0x1fc
	v_lshlrev_b32_e32 v5, 1, v28
	v_sub_f32_e32 v11, v44, v11
	v_and_or_b32 v18, v5, s0, v15
	v_fma_f32 v13, v44, 2.0, -v11
	v_lshl_add_u32 v44, v18, 2, 0
	ds_write2_b32 v44, v13, v11 offset1:2
	v_lshlrev_b32_e32 v13, 1, v29
	v_sub_f32_e32 v9, v45, v9
	v_and_or_b32 v18, v13, s0, v15
	v_fma_f32 v11, v45, 2.0, -v9
	v_lshl_add_u32 v45, v18, 2, 0
	ds_write2_b32 v45, v11, v9 offset1:2
	v_lshlrev_b32_e32 v9, 1, v31
	s_movk_i32 s0, 0x3fc
	v_sub_f32_e32 v11, v46, v32
	v_and_or_b32 v21, v9, s0, v15
	v_fma_f32 v18, v46, 2.0, -v11
	v_lshl_add_u32 v46, v21, 2, 0
	ds_write2_b32 v46, v18, v11 offset1:2
	s_movk_i32 s0, 0x2fc
	v_lshlrev_b32_e32 v11, 1, v30
	v_sub_f32_e32 v18, v47, v34
	v_and_or_b32 v15, v11, s0, v15
	v_sub_f32_e32 v19, v17, v19
	v_fma_f32 v21, v47, 2.0, -v18
	v_lshl_add_u32 v15, v15, 2, 0
	v_fma_f32 v34, v17, 2.0, -v19
	ds_write2_b32 v15, v21, v18 offset1:2
	s_waitcnt lgkmcnt(0)
	; wave barrier
	s_waitcnt lgkmcnt(0)
	ds_read_b32 v47, v12
	ds_read_b32 v48, v8
	ds_read_b32 v49, v4
	ds_read_b32 v50, v14
	ds_read_b32 v51, v16
	ds_read_b32 v52, v2
	ds_read2_b32 v[17:18], v24 offset0:80 offset1:136
	ds_read2_b32 v[21:22], v24 offset0:192 offset1:248
	;; [unrolled: 1-line block ×3, first 2 shown]
	s_waitcnt lgkmcnt(0)
	; wave barrier
	s_waitcnt lgkmcnt(0)
	ds_write2_b32 v42, v34, v19 offset1:2
	v_sub_f32_e32 v19, v37, v23
	v_fma_f32 v23, v37, 2.0, -v19
	ds_write2_b32 v43, v23, v19 offset1:2
	v_sub_f32_e32 v19, v38, v25
	v_fma_f32 v23, v38, 2.0, -v19
	;; [unrolled: 3-line block ×5, first 2 shown]
	ds_write2_b32 v15, v23, v19 offset1:2
	v_and_b32_e32 v15, 3, v26
	v_lshlrev_b32_e32 v19, 3, v15
	s_waitcnt lgkmcnt(0)
	; wave barrier
	s_waitcnt lgkmcnt(0)
	global_load_dwordx2 v[33:34], v19, s[8:9] offset:16
	ds_read2_b32 v[35:36], v24 offset0:80 offset1:136
	ds_read2_b32 v[37:38], v24 offset0:192 offset1:248
	s_movk_i32 s0, 0x78
	v_and_b32_e32 v30, 15, v30
	s_waitcnt vmcnt(0) lgkmcnt(1)
	v_mul_f32_e32 v19, v35, v34
	v_mul_f32_e32 v23, v36, v34
	v_fmac_f32_e32 v19, v17, v33
	v_fmac_f32_e32 v23, v18, v33
	v_mul_f32_e32 v17, v17, v34
	v_mul_f32_e32 v18, v18, v34
	v_fma_f32 v25, v35, v33, -v17
	v_fma_f32 v35, v36, v33, -v18
	ds_read2_b32 v[17:18], v6 offset0:48 offset1:104
	s_waitcnt lgkmcnt(1)
	v_mul_f32_e32 v36, v37, v34
	v_fmac_f32_e32 v36, v21, v33
	v_mul_f32_e32 v39, v38, v34
	v_mul_f32_e32 v21, v21, v34
	v_fmac_f32_e32 v39, v22, v33
	v_mul_f32_e32 v22, v22, v34
	v_fma_f32 v37, v37, v33, -v21
	s_waitcnt lgkmcnt(0)
	v_mul_f32_e32 v21, v17, v34
	v_fma_f32 v38, v38, v33, -v22
	v_fmac_f32_e32 v21, v31, v33
	v_mul_f32_e32 v22, v18, v34
	v_mul_f32_e32 v31, v31, v34
	v_fmac_f32_e32 v22, v32, v33
	v_mul_f32_e32 v32, v32, v34
	v_fma_f32 v34, v17, v33, -v31
	v_sub_f32_e32 v17, v47, v19
	v_and_or_b32 v31, v3, s0, v15
	v_fma_f32 v33, v18, v33, -v32
	v_fma_f32 v18, v47, 2.0, -v17
	v_lshl_add_u32 v45, v31, 2, 0
	s_movk_i32 s0, 0xf8
	ds_read_b32 v19, v12
	ds_read_b32 v40, v8
	;; [unrolled: 1-line block ×6, first 2 shown]
	s_waitcnt lgkmcnt(0)
	; wave barrier
	s_waitcnt lgkmcnt(0)
	ds_write2_b32 v45, v18, v17 offset1:4
	v_sub_f32_e32 v17, v48, v23
	v_and_or_b32 v23, v7, s0, v15
	v_fma_f32 v18, v48, 2.0, -v17
	v_lshl_add_u32 v23, v23, 2, 0
	s_movk_i32 s0, 0x1f8
	ds_write2_b32 v23, v18, v17 offset1:4
	v_sub_f32_e32 v17, v49, v36
	v_and_or_b32 v31, v5, s0, v15
	v_fma_f32 v18, v49, 2.0, -v17
	v_lshl_add_u32 v36, v31, 2, 0
	ds_write2_b32 v36, v18, v17 offset1:4
	v_sub_f32_e32 v17, v50, v39
	v_and_or_b32 v31, v13, s0, v15
	v_fma_f32 v18, v50, 2.0, -v17
	v_lshl_add_u32 v39, v31, 2, 0
	s_movk_i32 s0, 0x3f8
	ds_write2_b32 v39, v18, v17 offset1:4
	v_sub_f32_e32 v17, v51, v21
	v_and_or_b32 v21, v9, s0, v15
	v_fma_f32 v18, v51, 2.0, -v17
	v_lshl_add_u32 v46, v21, 2, 0
	s_movk_i32 s0, 0x2f8
	ds_write2_b32 v46, v18, v17 offset1:4
	v_sub_f32_e32 v17, v52, v22
	v_and_or_b32 v15, v11, s0, v15
	v_sub_f32_e32 v25, v19, v25
	v_fma_f32 v18, v52, 2.0, -v17
	v_lshl_add_u32 v15, v15, 2, 0
	v_fma_f32 v19, v19, 2.0, -v25
	ds_write2_b32 v15, v18, v17 offset1:4
	s_waitcnt lgkmcnt(0)
	; wave barrier
	s_waitcnt lgkmcnt(0)
	ds_read_b32 v47, v12
	ds_read_b32 v48, v8
	;; [unrolled: 1-line block ×6, first 2 shown]
	ds_read2_b32 v[17:18], v24 offset0:80 offset1:136
	ds_read2_b32 v[21:22], v24 offset0:192 offset1:248
	;; [unrolled: 1-line block ×3, first 2 shown]
	s_waitcnt lgkmcnt(0)
	; wave barrier
	s_waitcnt lgkmcnt(0)
	ds_write2_b32 v45, v19, v25 offset1:4
	v_sub_f32_e32 v19, v40, v35
	v_fma_f32 v25, v40, 2.0, -v19
	ds_write2_b32 v23, v25, v19 offset1:4
	v_sub_f32_e32 v19, v41, v37
	v_fma_f32 v23, v41, 2.0, -v19
	;; [unrolled: 3-line block ×5, first 2 shown]
	ds_write2_b32 v15, v23, v19 offset1:4
	v_and_b32_e32 v15, 7, v26
	v_lshlrev_b32_e32 v19, 3, v15
	s_waitcnt lgkmcnt(0)
	; wave barrier
	s_waitcnt lgkmcnt(0)
	global_load_dwordx2 v[33:34], v19, s[8:9] offset:48
	ds_read2_b32 v[35:36], v24 offset0:80 offset1:136
	ds_read2_b32 v[37:38], v24 offset0:192 offset1:248
	s_movk_i32 s0, 0x70
	s_waitcnt vmcnt(0) lgkmcnt(1)
	v_mul_f32_e32 v19, v35, v34
	v_mul_f32_e32 v23, v36, v34
	v_fmac_f32_e32 v19, v17, v33
	v_fmac_f32_e32 v23, v18, v33
	v_mul_f32_e32 v17, v17, v34
	v_mul_f32_e32 v18, v18, v34
	v_fma_f32 v25, v35, v33, -v17
	v_fma_f32 v35, v36, v33, -v18
	ds_read2_b32 v[17:18], v6 offset0:48 offset1:104
	s_waitcnt lgkmcnt(1)
	v_mul_f32_e32 v36, v37, v34
	v_fmac_f32_e32 v36, v21, v33
	v_mul_f32_e32 v39, v38, v34
	v_mul_f32_e32 v21, v21, v34
	v_fmac_f32_e32 v39, v22, v33
	v_mul_f32_e32 v22, v22, v34
	v_fma_f32 v37, v37, v33, -v21
	s_waitcnt lgkmcnt(0)
	v_mul_f32_e32 v21, v17, v34
	v_fma_f32 v38, v38, v33, -v22
	v_fmac_f32_e32 v21, v31, v33
	v_mul_f32_e32 v22, v18, v34
	v_mul_f32_e32 v31, v31, v34
	v_fmac_f32_e32 v22, v32, v33
	v_mul_f32_e32 v32, v32, v34
	v_fma_f32 v34, v17, v33, -v31
	v_sub_f32_e32 v17, v47, v19
	v_and_or_b32 v31, v3, s0, v15
	v_fma_f32 v33, v18, v33, -v32
	v_fma_f32 v18, v47, 2.0, -v17
	v_lshl_add_u32 v45, v31, 2, 0
	s_movk_i32 s0, 0xf0
	ds_read_b32 v19, v12
	ds_read_b32 v40, v8
	;; [unrolled: 1-line block ×6, first 2 shown]
	s_waitcnt lgkmcnt(0)
	; wave barrier
	s_waitcnt lgkmcnt(0)
	ds_write2_b32 v45, v18, v17 offset1:8
	v_sub_f32_e32 v17, v48, v23
	v_and_or_b32 v23, v7, s0, v15
	v_fma_f32 v18, v48, 2.0, -v17
	v_lshl_add_u32 v23, v23, 2, 0
	s_movk_i32 s0, 0x1f0
	ds_write2_b32 v23, v18, v17 offset1:8
	v_sub_f32_e32 v17, v49, v36
	v_and_or_b32 v31, v5, s0, v15
	v_fma_f32 v18, v49, 2.0, -v17
	v_lshl_add_u32 v36, v31, 2, 0
	ds_write2_b32 v36, v18, v17 offset1:8
	v_sub_f32_e32 v17, v50, v39
	v_and_or_b32 v31, v13, s0, v15
	v_fma_f32 v18, v50, 2.0, -v17
	v_lshl_add_u32 v39, v31, 2, 0
	s_movk_i32 s0, 0x3f0
	ds_write2_b32 v39, v18, v17 offset1:8
	v_sub_f32_e32 v17, v51, v21
	v_and_or_b32 v21, v9, s0, v15
	v_fma_f32 v18, v51, 2.0, -v17
	v_lshl_add_u32 v46, v21, 2, 0
	s_movk_i32 s0, 0x2f0
	ds_write2_b32 v46, v18, v17 offset1:8
	v_sub_f32_e32 v17, v52, v22
	v_and_or_b32 v15, v11, s0, v15
	v_sub_f32_e32 v25, v19, v25
	v_fma_f32 v18, v52, 2.0, -v17
	v_lshl_add_u32 v15, v15, 2, 0
	v_fma_f32 v19, v19, 2.0, -v25
	ds_write2_b32 v15, v18, v17 offset1:8
	s_waitcnt lgkmcnt(0)
	; wave barrier
	s_waitcnt lgkmcnt(0)
	ds_read_b32 v47, v12
	ds_read_b32 v48, v8
	;; [unrolled: 1-line block ×6, first 2 shown]
	ds_read2_b32 v[17:18], v24 offset0:80 offset1:136
	ds_read2_b32 v[21:22], v24 offset0:192 offset1:248
	;; [unrolled: 1-line block ×3, first 2 shown]
	s_waitcnt lgkmcnt(0)
	; wave barrier
	s_waitcnt lgkmcnt(0)
	ds_write2_b32 v45, v19, v25 offset1:8
	v_sub_f32_e32 v19, v40, v35
	v_fma_f32 v25, v40, 2.0, -v19
	ds_write2_b32 v23, v25, v19 offset1:8
	v_sub_f32_e32 v19, v41, v37
	v_fma_f32 v23, v41, 2.0, -v19
	;; [unrolled: 3-line block ×5, first 2 shown]
	ds_write2_b32 v15, v23, v19 offset1:8
	v_and_b32_e32 v15, 15, v27
	v_lshlrev_b32_e32 v19, 3, v15
	s_waitcnt lgkmcnt(0)
	; wave barrier
	s_waitcnt lgkmcnt(0)
	global_load_dwordx2 v[33:34], v19, s[8:9] offset:112
	v_and_b32_e32 v43, 15, v29
	v_and_b32_e32 v25, 15, v26
	v_lshlrev_b32_e32 v41, 3, v43
	v_lshlrev_b32_e32 v23, 3, v25
	;; [unrolled: 1-line block ×3, first 2 shown]
	global_load_dwordx2 v[35:36], v41, s[8:9] offset:112
	global_load_dwordx2 v[37:38], v19, s[8:9] offset:112
	global_load_dwordx2 v[39:40], v23, s[8:9] offset:112
	ds_read2_b32 v[41:42], v24 offset0:80 offset1:136
	s_movk_i32 s0, 0x60
	s_waitcnt vmcnt(3) lgkmcnt(0)
	v_mul_f32_e32 v44, v42, v34
	v_fmac_f32_e32 v44, v18, v33
	v_mul_f32_e32 v18, v18, v34
	v_fma_f32 v33, v42, v33, -v18
	ds_read2_b32 v[18:19], v24 offset0:192 offset1:248
	s_waitcnt vmcnt(0)
	v_mul_f32_e32 v34, v41, v40
	v_fmac_f32_e32 v34, v17, v39
	v_mul_f32_e32 v17, v17, v40
	v_fma_f32 v17, v41, v39, -v17
	s_waitcnt lgkmcnt(0)
	v_mul_f32_e32 v41, v19, v36
	v_fmac_f32_e32 v41, v22, v35
	v_mul_f32_e32 v22, v22, v36
	v_fma_f32 v19, v19, v35, -v22
	ds_read2_b32 v[22:23], v6 offset0:48 offset1:104
	v_mul_f32_e32 v35, v18, v40
	v_fmac_f32_e32 v35, v21, v39
	v_mul_f32_e32 v21, v21, v40
	v_fma_f32 v21, v18, v39, -v21
	s_waitcnt lgkmcnt(0)
	v_mul_f32_e32 v18, v22, v40
	v_fmac_f32_e32 v18, v31, v39
	v_mul_f32_e32 v31, v31, v40
	v_fma_f32 v31, v22, v39, -v31
	v_mul_f32_e32 v22, v23, v38
	v_fmac_f32_e32 v22, v32, v37
	v_mul_f32_e32 v32, v32, v38
	v_fma_f32 v32, v23, v37, -v32
	v_sub_f32_e32 v23, v47, v34
	ds_read_b32 v36, v12
	ds_read_b32 v37, v8
	;; [unrolled: 1-line block ×6, first 2 shown]
	v_and_or_b32 v2, v3, s0, v25
	v_fma_f32 v34, v47, 2.0, -v23
	v_lshl_add_u32 v3, v2, 2, 0
	v_and_or_b32 v2, v7, s1, v15
	v_sub_f32_e32 v7, v48, v44
	s_movk_i32 s1, 0x1e0
	s_waitcnt lgkmcnt(0)
	; wave barrier
	s_waitcnt lgkmcnt(0)
	ds_write2_b32 v3, v34, v23 offset1:16
	v_fma_f32 v15, v48, 2.0, -v7
	v_lshl_add_u32 v34, v2, 2, 0
	v_sub_f32_e32 v2, v49, v35
	v_and_or_b32 v5, v5, s1, v25
	ds_write2_b32 v34, v15, v7 offset1:16
	v_fma_f32 v7, v49, 2.0, -v2
	v_lshl_add_u32 v15, v5, 2, 0
	ds_write2_b32 v15, v7, v2 offset1:16
	v_and_or_b32 v2, v13, s1, v43
	v_sub_f32_e32 v5, v50, v41
	s_movk_i32 s1, 0x3e0
	v_fma_f32 v7, v50, 2.0, -v5
	v_lshl_add_u32 v13, v2, 2, 0
	v_and_or_b32 v2, v9, s1, v25
	s_movk_i32 s1, 0x2e0
	ds_write2_b32 v13, v7, v5 offset1:16
	v_sub_f32_e32 v7, v36, v17
	v_sub_f32_e32 v5, v51, v18
	;; [unrolled: 1-line block ×3, first 2 shown]
	v_lshl_add_u32 v25, v2, 2, 0
	v_and_or_b32 v2, v11, s1, v30
	v_fma_f32 v9, v36, 2.0, -v7
	v_fma_f32 v17, v51, 2.0, -v5
	v_fma_f32 v22, v52, 2.0, -v18
	v_lshl_add_u32 v11, v2, 2, 0
	ds_write2_b32 v25, v17, v5 offset1:16
	ds_write2_b32 v11, v22, v18 offset1:16
	s_waitcnt lgkmcnt(0)
	; wave barrier
	s_waitcnt lgkmcnt(0)
	ds_read_b32 v53, v12
	v_add_u32_e32 v51, 0x600, v12
	ds_read_b32 v2, v4
	ds_read_b32 v54, v16
	;; [unrolled: 1-line block ×4, first 2 shown]
	ds_read_b32 v56, v12 offset:2464
	ds_read2_b32 v[17:18], v24 offset0:136 offset1:192
	ds_read2_b32 v[22:23], v24 offset0:24 offset1:80
	;; [unrolled: 1-line block ×3, first 2 shown]
	s_waitcnt lgkmcnt(0)
	; wave barrier
	s_waitcnt lgkmcnt(0)
	ds_write2_b32 v3, v9, v7 offset1:16
	v_sub_f32_e32 v3, v37, v33
	v_fma_f32 v7, v37, 2.0, -v3
	ds_write2_b32 v34, v7, v3 offset1:16
	v_sub_f32_e32 v3, v40, v21
	v_fma_f32 v7, v40, 2.0, -v3
	;; [unrolled: 3-line block ×4, first 2 shown]
	v_sub_f32_e32 v9, v45, v32
	v_fma_f32 v13, v45, 2.0, -v9
	ds_write2_b32 v25, v7, v3 offset1:16
	ds_write2_b32 v11, v13, v9 offset1:16
	v_and_b32_e32 v3, 31, v27
	v_lshlrev_b32_e32 v7, 4, v3
	s_waitcnt lgkmcnt(0)
	; wave barrier
	s_waitcnt lgkmcnt(0)
	global_load_dwordx4 v[30:33], v7, s[8:9] offset:240
	v_and_b32_e32 v11, 31, v28
	v_lshlrev_b32_e32 v7, 4, v11
	global_load_dwordx4 v[34:37], v7, s[8:9] offset:240
	v_and_b32_e32 v19, 31, v26
	v_lshlrev_b32_e32 v7, 4, v19
	global_load_dwordx4 v[41:44], v7, s[8:9] offset:240
	v_lshlrev_b32_e32 v7, 4, v57
	global_load_dwordx4 v[45:48], v7, s[8:9] offset:240
	ds_read2_b32 v[49:50], v24 offset0:24 offset1:80
	ds_read2_b32 v[51:52], v51 offset0:120 offset1:176
	s_waitcnt vmcnt(3) lgkmcnt(1)
	v_mul_f32_e32 v13, v49, v31
	v_mul_f32_e32 v7, v22, v31
	v_fmac_f32_e32 v13, v22, v30
	v_fma_f32 v25, v49, v30, -v7
	s_waitcnt lgkmcnt(0)
	v_mul_f32_e32 v22, v51, v33
	v_mul_f32_e32 v7, v38, v33
	v_fmac_f32_e32 v22, v38, v32
	v_fma_f32 v32, v51, v32, -v7
	s_waitcnt vmcnt(2)
	v_mul_f32_e32 v9, v50, v35
	v_mul_f32_e32 v7, v23, v35
	ds_read_b32 v30, v16
	v_fmac_f32_e32 v9, v23, v34
	v_fma_f32 v23, v50, v34, -v7
	v_mul_f32_e32 v7, v39, v37
	v_fma_f32 v31, v52, v36, -v7
	ds_read2_b32 v[15:16], v24 offset0:136 offset1:192
	ds_read_b32 v7, v14
	s_waitcnt vmcnt(1)
	v_mul_f32_e32 v14, v54, v42
	s_waitcnt lgkmcnt(2)
	v_mul_f32_e32 v40, v30, v42
	v_fma_f32 v42, v30, v41, -v14
	v_mul_f32_e32 v14, v18, v44
	v_fmac_f32_e32 v40, v54, v41
	s_waitcnt lgkmcnt(1)
	v_mul_f32_e32 v41, v16, v44
	v_fma_f32 v44, v16, v43, -v14
	ds_read_b32 v16, v12 offset:2464
	v_mul_f32_e32 v21, v52, v37
	v_fmac_f32_e32 v41, v18, v43
	s_waitcnt vmcnt(0)
	v_mul_f32_e32 v14, v17, v46
	v_fmac_f32_e32 v21, v39, v36
	v_fma_f32 v36, v15, v45, -v14
	ds_read_b32 v33, v8
	ds_read_b32 v8, v4
	ds_read_b32 v34, v12
	v_mul_f32_e32 v4, v56, v48
	v_add_f32_e32 v14, v40, v41
	s_waitcnt lgkmcnt(3)
	v_fma_f32 v38, v16, v47, -v4
	v_add_f32_e32 v4, v53, v40
	v_fmac_f32_e32 v53, -0.5, v14
	v_lshrrev_b32_e32 v14, 5, v26
	v_mul_u32_u24_e32 v14, 0x60, v14
	v_or_b32_e32 v14, v14, v19
	v_lshl_add_u32 v39, v14, 2, 0
	v_lshrrev_b32_e32 v14, 5, v27
	v_mul_lo_u32 v14, v14, s0
	v_mul_f32_e32 v35, v15, v46
	v_mul_f32_e32 v37, v16, v48
	v_sub_f32_e32 v15, v42, v44
	v_mov_b32_e32 v16, v53
	v_add_f32_e32 v4, v4, v41
	v_fmac_f32_e32 v16, 0xbf5db3d7, v15
	v_fmac_f32_e32 v53, 0x3f5db3d7, v15
	v_add_f32_e32 v15, v13, v22
	s_waitcnt lgkmcnt(0)
	; wave barrier
	s_waitcnt lgkmcnt(0)
	ds_write2_b32 v39, v4, v16 offset1:32
	v_add_f32_e32 v4, v55, v13
	v_fmac_f32_e32 v55, -0.5, v15
	v_or_b32_e32 v3, v14, v3
	v_sub_f32_e32 v14, v25, v32
	v_mov_b32_e32 v15, v55
	v_lshl_add_u32 v43, v3, 2, 0
	v_add_f32_e32 v3, v9, v21
	v_fmac_f32_e32 v35, v17, v45
	v_fmac_f32_e32 v37, v56, v47
	v_add_f32_e32 v4, v4, v22
	v_fmac_f32_e32 v15, 0xbf5db3d7, v14
	v_fmac_f32_e32 v55, 0x3f5db3d7, v14
	v_add_f32_e32 v14, v2, v9
	v_fmac_f32_e32 v2, -0.5, v3
	ds_write_b32 v39, v53 offset:256
	ds_write2_b32 v43, v4, v15 offset1:32
	v_sub_f32_e32 v3, v23, v31
	v_mov_b32_e32 v30, v2
	v_add_f32_e32 v4, v35, v37
	v_fmac_f32_e32 v30, 0xbf5db3d7, v3
	v_fmac_f32_e32 v2, 0x3f5db3d7, v3
	v_add_f32_e32 v3, v5, v35
	v_fmac_f32_e32 v5, -0.5, v4
	v_mov_b32_e32 v4, v5
	v_sub_f32_e32 v15, v36, v38
	v_lshrrev_b32_e32 v16, 5, v28
	v_mul_lo_u32 v16, v16, s0
	v_fmac_f32_e32 v4, 0xbf5db3d7, v15
	v_fmac_f32_e32 v5, 0x3f5db3d7, v15
	v_lshrrev_b32_e32 v15, 5, v29
	v_mul_lo_u32 v15, v15, s0
	v_or_b32_e32 v11, v16, v11
	v_lshl_add_u32 v45, v11, 2, 0
	v_add_f32_e32 v3, v3, v37
	v_or_b32_e32 v11, v15, v57
	v_add_f32_e32 v14, v14, v21
	v_lshl_add_u32 v47, v11, 2, 0
	ds_write_b32 v43, v55 offset:256
	ds_write2_b32 v45, v14, v30 offset1:32
	ds_write_b32 v45, v2 offset:256
	ds_write2_b32 v47, v3, v4 offset1:32
	ds_write_b32 v47, v5 offset:256
	s_waitcnt lgkmcnt(0)
	; wave barrier
	s_waitcnt lgkmcnt(0)
	v_add_u32_e32 v48, 0x200, v12
	ds_read_b32 v29, v12 offset:2304
	ds_read2_b32 v[14:15], v12 offset1:96
	ds_read2_b32 v[16:17], v48 offset0:64 offset1:160
	ds_read2_b32 v[18:19], v24 offset0:128 offset1:224
	v_add_u32_e32 v46, v20, v10
	v_cmp_gt_u32_e64 s[0:1], 40, v26
                                        ; implicit-def: $vgpr11
	s_and_saveexec_b64 s[4:5], s[0:1]
	s_cbranch_execz .LBB0_15
; %bb.14:
	ds_read_b32 v30, v46
	ds_read2_b32 v[2:3], v12 offset0:152 offset1:248
	ds_read2_b32 v[4:5], v24 offset0:88 offset1:184
	;; [unrolled: 1-line block ×3, first 2 shown]
.LBB0_15:
	s_or_b64 exec, exec, s[4:5]
	v_add_f32_e32 v6, v34, v42
	v_add_f32_e32 v20, v6, v44
	v_add_f32_e32 v6, v42, v44
	v_fmac_f32_e32 v34, -0.5, v6
	v_sub_f32_e32 v6, v40, v41
	v_mov_b32_e32 v40, v34
	v_fmac_f32_e32 v40, 0x3f5db3d7, v6
	v_fmac_f32_e32 v34, 0xbf5db3d7, v6
	v_add_f32_e32 v6, v33, v25
	v_add_f32_e32 v41, v6, v32
	v_add_f32_e32 v6, v25, v32
	v_fmac_f32_e32 v33, -0.5, v6
	v_sub_f32_e32 v6, v13, v22
	v_mov_b32_e32 v13, v33
	v_fmac_f32_e32 v13, 0x3f5db3d7, v6
	v_fmac_f32_e32 v33, 0xbf5db3d7, v6
	;; [unrolled: 8-line block ×4, first 2 shown]
	s_waitcnt lgkmcnt(0)
	; wave barrier
	s_waitcnt lgkmcnt(0)
	ds_write2_b32 v39, v20, v40 offset1:32
	ds_write_b32 v39, v34 offset:256
	ds_write2_b32 v43, v41, v13 offset1:32
	ds_write_b32 v43, v33 offset:256
	;; [unrolled: 2-line block ×4, first 2 shown]
	s_waitcnt lgkmcnt(0)
	; wave barrier
	s_waitcnt lgkmcnt(0)
	ds_read2_b32 v[20:21], v12 offset1:96
	ds_read2_b32 v[22:23], v48 offset0:64 offset1:160
	ds_read2_b32 v[24:25], v24 offset0:128 offset1:224
	ds_read_b32 v31, v12 offset:2304
                                        ; implicit-def: $vgpr13
	s_and_saveexec_b64 s[4:5], s[0:1]
	s_cbranch_execz .LBB0_17
; %bb.16:
	ds_read_b32 v28, v46
	ds_read2_b32 v[8:9], v12 offset0:152 offset1:248
	v_add_u32_e32 v6, 0x400, v12
	v_add_u32_e32 v12, 0x800, v12
	ds_read2_b32 v[6:7], v6 offset0:88 offset1:184
	ds_read2_b32 v[12:13], v12 offset0:24 offset1:120
.LBB0_17:
	s_or_b64 exec, exec, s[4:5]
	s_and_saveexec_b64 s[4:5], vcc
	s_cbranch_execz .LBB0_20
; %bb.18:
	v_mul_u32_u24_e32 v32, 6, v26
	v_lshlrev_b32_e32 v44, 3, v32
	global_load_dwordx4 v[32:35], v44, s[8:9] offset:752
	global_load_dwordx4 v[36:39], v44, s[8:9] offset:784
	;; [unrolled: 1-line block ×3, first 2 shown]
	s_mov_b32 s5, 0xbf5ff5aa
	s_mov_b32 s4, 0x3eae86e6
	;; [unrolled: 1-line block ×4, first 2 shown]
	v_add_co_u32_e32 v0, vcc, s12, v0
	s_waitcnt vmcnt(2)
	v_mul_f32_e32 v44, v15, v32
	s_waitcnt vmcnt(1) lgkmcnt(0)
	v_mul_f32_e32 v45, v31, v39
	s_waitcnt vmcnt(0)
	v_mul_f32_e32 v46, v24, v43
	v_mul_f32_e32 v47, v23, v41
	;; [unrolled: 1-line block ×10, first 2 shown]
	v_fmac_f32_e32 v44, v21, v33
	v_fmac_f32_e32 v45, v29, v38
	;; [unrolled: 1-line block ×6, first 2 shown]
	v_fma_f32 v16, v31, v38, -v39
	v_fma_f32 v15, v21, v32, -v15
	;; [unrolled: 1-line block ×6, first 2 shown]
	v_sub_f32_e32 v22, v44, v45
	v_sub_f32_e32 v23, v46, v47
	;; [unrolled: 1-line block ×3, first 2 shown]
	v_add_f32_e32 v25, v15, v16
	v_add_f32_e32 v29, v18, v17
	;; [unrolled: 1-line block ×6, first 2 shown]
	v_sub_f32_e32 v35, v15, v16
	v_sub_f32_e32 v15, v18, v17
	;; [unrolled: 1-line block ×5, first 2 shown]
	v_add_f32_e32 v19, v23, v24
	v_sub_f32_e32 v23, v29, v31
	v_add_f32_e32 v36, v25, v31
	v_sub_f32_e32 v38, v33, v34
	;; [unrolled: 2-line block ×3, first 2 shown]
	v_sub_f32_e32 v40, v35, v15
	v_sub_f32_e32 v41, v15, v18
	v_add_f32_e32 v15, v15, v18
	v_sub_f32_e32 v24, v24, v22
	v_add_f32_e32 v22, v22, v19
	v_mul_f32_e32 v23, 0x3d64c772, v23
	v_add_f32_e32 v19, v29, v36
	v_mul_f32_e32 v36, 0x3d64c772, v38
	v_add_f32_e32 v33, v33, v39
	v_sub_f32_e32 v21, v25, v29
	v_sub_f32_e32 v25, v31, v25
	v_mul_f32_e32 v31, 0x3f08b237, v17
	v_add_f32_e32 v39, v35, v15
	v_mov_b32_e32 v43, v23
	v_add_f32_e32 v15, v20, v19
	v_mov_b32_e32 v20, v36
	v_add_f32_e32 v14, v14, v33
	v_mul_f32_e32 v17, 0x3f4a47b2, v21
	v_mul_f32_e32 v29, 0x3f4a47b2, v37
	;; [unrolled: 1-line block ×4, first 2 shown]
	v_mov_b32_e32 v42, v31
	v_fmac_f32_e32 v43, 0x3f4a47b2, v21
	v_mov_b32_e32 v21, v15
	v_fmac_f32_e32 v20, 0x3f4a47b2, v37
	v_mov_b32_e32 v37, v14
	v_fma_f32 v41, v16, s4, -v41
	v_fmac_f32_e32 v42, 0xbeae86e6, v16
	v_fmac_f32_e32 v21, 0xbf955555, v19
	;; [unrolled: 1-line block ×3, first 2 shown]
	v_fma_f32 v23, v25, s7, -v23
	v_fma_f32 v24, v24, s5, -v31
	;; [unrolled: 1-line block ×3, first 2 shown]
	v_fmac_f32_e32 v41, 0xbee1c552, v22
	v_fmac_f32_e32 v42, 0xbee1c552, v22
	v_add_f32_e32 v46, v20, v37
	v_sub_f32_e32 v20, v34, v32
	v_sub_f32_e32 v32, v18, v35
	v_add_f32_e32 v25, v23, v21
	v_fmac_f32_e32 v24, 0xbee1c552, v22
	v_mad_u64_u32 v[22:23], s[10:11], s2, v26, 0
	v_fma_f32 v29, v20, s6, -v29
	v_fma_f32 v31, v32, s5, -v38
	;; [unrolled: 1-line block ×3, first 2 shown]
	v_mul_f32_e32 v18, 0xbf5ff5aa, v32
	v_fmac_f32_e32 v31, 0xbee1c552, v39
	v_add_f32_e32 v32, v20, v37
	v_add_f32_e32 v43, v43, v21
	;; [unrolled: 1-line block ×3, first 2 shown]
	v_sub_f32_e32 v21, v25, v24
	v_add_f32_e32 v25, v24, v25
	v_sub_f32_e32 v24, v32, v31
	v_add_f32_e32 v19, v41, v33
	v_add_f32_e32 v20, v31, v32
	v_sub_f32_e32 v32, v33, v41
	v_mad_u64_u32 v[33:34], s[10:11], s3, v26, v[23:24]
	v_add_f32_e32 v29, v29, v37
	v_fma_f32 v35, v40, s4, -v18
	v_mov_b32_e32 v23, v33
	v_add_u32_e32 v33, 0x60, v26
	v_mad_u64_u32 v[36:37], s[10:11], s2, v33, 0
	v_fmac_f32_e32 v35, 0xbee1c552, v39
	v_sub_f32_e32 v18, v29, v35
	v_add_f32_e32 v31, v35, v29
	v_mov_b32_e32 v29, s13
	v_mov_b32_e32 v44, v38
	v_addc_co_u32_e32 v1, vcc, v29, v1, vcc
	v_mov_b32_e32 v29, v37
	v_fmac_f32_e32 v44, 0xbeae86e6, v40
	v_mad_u64_u32 v[37:38], s[10:11], s3, v33, v[29:30]
	v_or_b32_e32 v29, 0xc0, v26
	v_fmac_f32_e32 v44, 0xbee1c552, v39
	v_lshlrev_b64 v[22:23], 3, v[22:23]
	v_mad_u64_u32 v[38:39], s[10:11], s2, v29, 0
	v_add_co_u32_e32 v22, vcc, v0, v22
	v_addc_co_u32_e32 v23, vcc, v1, v23, vcc
	global_store_dwordx2 v[22:23], v[14:15], off
	v_mov_b32_e32 v22, v39
	v_mad_u64_u32 v[22:23], s[10:11], s3, v29, v[22:23]
	v_add_u32_e32 v29, 0x120, v26
	v_lshlrev_b64 v[14:15], 3, v[36:37]
	v_mov_b32_e32 v39, v22
	v_mad_u64_u32 v[22:23], s[10:11], s2, v29, 0
	v_add_co_u32_e32 v14, vcc, v0, v14
	v_sub_f32_e32 v35, v43, v42
	v_add_f32_e32 v34, v44, v46
	v_addc_co_u32_e32 v15, vcc, v1, v15, vcc
	global_store_dwordx2 v[14:15], v[34:35], off
	v_mad_u64_u32 v[33:34], s[10:11], s3, v29, v[23:24]
	v_or_b32_e32 v29, 0x180, v26
	v_lshlrev_b64 v[14:15], 3, v[38:39]
	v_mad_u64_u32 v[34:35], s[10:11], s2, v29, 0
	v_add_co_u32_e32 v14, vcc, v0, v14
	v_addc_co_u32_e32 v15, vcc, v1, v15, vcc
	v_mov_b32_e32 v23, v33
	global_store_dwordx2 v[14:15], v[31:32], off
	v_lshlrev_b64 v[14:15], 3, v[22:23]
	v_mov_b32_e32 v22, v35
	v_mad_u64_u32 v[22:23], s[10:11], s3, v29, v[22:23]
	v_add_co_u32_e32 v14, vcc, v0, v14
	v_addc_co_u32_e32 v15, vcc, v1, v15, vcc
	global_store_dwordx2 v[14:15], v[24:25], off
	v_add_u32_e32 v24, 0x1e0, v26
	v_mov_b32_e32 v35, v22
	v_mad_u64_u32 v[22:23], s[10:11], s2, v24, 0
	v_or_b32_e32 v29, 0x240, v26
	v_lshlrev_b64 v[14:15], 3, v[34:35]
	v_mad_u64_u32 v[23:24], s[10:11], s3, v24, v[23:24]
	v_mad_u64_u32 v[24:25], s[10:11], s2, v29, 0
	v_add_co_u32_e32 v14, vcc, v0, v14
	v_addc_co_u32_e32 v15, vcc, v1, v15, vcc
	global_store_dwordx2 v[14:15], v[20:21], off
	v_mov_b32_e32 v20, v25
	v_mad_u64_u32 v[20:21], s[10:11], s3, v29, v[20:21]
	v_lshlrev_b64 v[14:15], 3, v[22:23]
	v_add_f32_e32 v17, v42, v43
	v_add_co_u32_e32 v14, vcc, v0, v14
	v_addc_co_u32_e32 v15, vcc, v1, v15, vcc
	v_mov_b32_e32 v25, v20
	global_store_dwordx2 v[14:15], v[18:19], off
	v_lshlrev_b64 v[14:15], 3, v[24:25]
	v_sub_f32_e32 v16, v46, v44
	v_add_co_u32_e32 v14, vcc, v0, v14
	v_addc_co_u32_e32 v15, vcc, v1, v15, vcc
	global_store_dwordx2 v[14:15], v[16:17], off
	s_and_b64 exec, exec, s[0:1]
	s_cbranch_execz .LBB0_20
; %bb.19:
	v_subrev_u32_e32 v14, 40, v26
	v_cndmask_b32_e64 v14, v14, v27, s[0:1]
	v_mul_i32_i24_e32 v14, 6, v14
	v_mov_b32_e32 v15, 0
	v_lshlrev_b64 v[14:15], 3, v[14:15]
	v_mov_b32_e32 v16, s9
	v_add_co_u32_e32 v31, vcc, s8, v14
	v_addc_co_u32_e32 v32, vcc, v16, v15, vcc
	global_load_dwordx4 v[14:17], v[31:32], off offset:752
	global_load_dwordx4 v[18:21], v[31:32], off offset:768
	;; [unrolled: 1-line block ×3, first 2 shown]
	s_waitcnt vmcnt(2)
	v_mul_f32_e32 v27, v8, v15
	v_mul_f32_e32 v15, v2, v15
	;; [unrolled: 1-line block ×3, first 2 shown]
	s_waitcnt vmcnt(1)
	v_mul_f32_e32 v32, v7, v21
	v_mul_f32_e32 v21, v5, v21
	s_waitcnt vmcnt(0)
	v_mul_f32_e32 v33, v12, v23
	v_mul_f32_e32 v34, v13, v25
	;; [unrolled: 1-line block ×7, first 2 shown]
	v_fmac_f32_e32 v27, v2, v14
	v_fma_f32 v2, v8, v14, -v15
	v_fmac_f32_e32 v29, v3, v16
	v_fmac_f32_e32 v32, v5, v20
	v_fma_f32 v5, v7, v20, -v21
	v_fmac_f32_e32 v33, v10, v22
	v_fmac_f32_e32 v34, v11, v24
	v_fma_f32 v7, v13, v24, -v25
	v_fma_f32 v3, v9, v16, -v17
	v_fmac_f32_e32 v31, v4, v18
	v_fma_f32 v4, v6, v18, -v19
	v_fma_f32 v6, v12, v22, -v23
	v_add_f32_e32 v8, v27, v34
	v_add_f32_e32 v9, v2, v7
	v_sub_f32_e32 v2, v2, v7
	v_add_f32_e32 v7, v29, v33
	v_add_f32_e32 v11, v3, v6
	v_sub_f32_e32 v3, v3, v6
	;; [unrolled: 3-line block ×3, first 2 shown]
	v_add_f32_e32 v5, v7, v8
	v_sub_f32_e32 v10, v27, v34
	v_sub_f32_e32 v12, v29, v33
	;; [unrolled: 1-line block ×3, first 2 shown]
	v_add_f32_e32 v15, v11, v9
	v_sub_f32_e32 v16, v7, v8
	v_sub_f32_e32 v17, v11, v9
	;; [unrolled: 1-line block ×5, first 2 shown]
	v_add_f32_e32 v19, v4, v3
	v_add_f32_e32 v5, v6, v5
	v_sub_f32_e32 v11, v13, v11
	v_add_f32_e32 v18, v14, v12
	v_sub_f32_e32 v20, v14, v12
	v_sub_f32_e32 v21, v4, v3
	;; [unrolled: 1-line block ×5, first 2 shown]
	v_add_f32_e32 v6, v13, v15
	v_add_f32_e32 v13, v19, v2
	v_mul_f32_e32 v8, 0x3f4a47b2, v8
	v_mul_f32_e32 v9, 0x3f4a47b2, v9
	;; [unrolled: 1-line block ×3, first 2 shown]
	v_add_f32_e32 v2, v30, v5
	v_sub_f32_e32 v14, v10, v14
	v_add_f32_e32 v10, v18, v10
	v_mul_f32_e32 v18, 0x3d64c772, v11
	v_mul_f32_e32 v19, 0x3f08b237, v20
	;; [unrolled: 1-line block ×4, first 2 shown]
	v_fma_f32 v15, v16, s7, -v15
	v_fma_f32 v16, v16, s6, -v8
	v_fmac_f32_e32 v8, 0x3d64c772, v7
	v_fma_f32 v7, v17, s6, -v9
	v_fmac_f32_e32 v9, 0x3d64c772, v11
	v_mov_b32_e32 v11, v2
	v_mul_f32_e32 v23, 0xbf5ff5aa, v22
	v_fma_f32 v18, v17, s7, -v18
	v_fma_f32 v17, v12, s5, -v19
	v_fmac_f32_e32 v19, 0xbeae86e6, v14
	v_fma_f32 v21, v14, s4, -v21
	v_fmac_f32_e32 v11, 0xbf955555, v5
	v_add_u32_e32 v27, 56, v26
	v_add_f32_e32 v3, v28, v6
	v_fma_f32 v12, v22, s5, -v20
	v_fma_f32 v22, v4, s4, -v23
	v_add_f32_e32 v23, v8, v11
	v_add_f32_e32 v15, v15, v11
	;; [unrolled: 1-line block ×3, first 2 shown]
	v_fmac_f32_e32 v19, 0xbee1c552, v10
	v_fmac_f32_e32 v17, 0xbee1c552, v10
	;; [unrolled: 1-line block ×3, first 2 shown]
	v_mad_u64_u32 v[10:11], s[0:1], s2, v27, 0
	v_mov_b32_e32 v14, v3
	v_fmac_f32_e32 v14, 0xbf955555, v6
	v_fmac_f32_e32 v12, 0xbee1c552, v13
	;; [unrolled: 1-line block ×3, first 2 shown]
	v_add_f32_e32 v18, v18, v14
	v_add_f32_e32 v25, v7, v14
	v_fmac_f32_e32 v22, 0xbee1c552, v13
	v_sub_f32_e32 v8, v15, v12
	v_add_f32_e32 v12, v12, v15
	v_add_f32_e32 v24, v9, v14
	v_fmac_f32_e32 v20, 0xbee1c552, v13
	v_add_f32_e32 v6, v22, v16
	v_sub_f32_e32 v7, v25, v21
	v_add_f32_e32 v9, v17, v18
	v_sub_f32_e32 v13, v18, v17
	v_sub_f32_e32 v14, v16, v22
	v_mad_u64_u32 v[16:17], s[0:1], s3, v27, v[11:12]
	v_add_f32_e32 v15, v21, v25
	v_add_u32_e32 v21, 0x98, v26
	v_add_f32_e32 v4, v20, v23
	v_sub_f32_e32 v5, v24, v19
	v_sub_f32_e32 v17, v23, v20
	v_add_f32_e32 v18, v19, v24
	v_mad_u64_u32 v[19:20], s[0:1], s2, v21, 0
	v_mov_b32_e32 v11, v16
	v_lshlrev_b64 v[10:11], 3, v[10:11]
	v_mov_b32_e32 v16, v20
	v_mad_u64_u32 v[20:21], s[0:1], s3, v21, v[16:17]
	v_add_u32_e32 v16, 0xf8, v26
	v_mad_u64_u32 v[21:22], s[0:1], s2, v16, 0
	v_add_co_u32_e32 v10, vcc, v0, v10
	v_addc_co_u32_e32 v11, vcc, v1, v11, vcc
	global_store_dwordx2 v[10:11], v[2:3], off
	v_mov_b32_e32 v10, v22
	v_mad_u64_u32 v[10:11], s[0:1], s3, v16, v[10:11]
	v_lshlrev_b64 v[2:3], 3, v[19:20]
	v_add_co_u32_e32 v2, vcc, v0, v2
	v_addc_co_u32_e32 v3, vcc, v1, v3, vcc
	v_mov_b32_e32 v22, v10
	v_add_u32_e32 v10, 0x158, v26
	global_store_dwordx2 v[2:3], v[4:5], off
	v_mad_u64_u32 v[4:5], s[0:1], s2, v10, 0
	v_lshlrev_b64 v[2:3], 3, v[21:22]
	v_mad_u64_u32 v[10:11], s[0:1], s3, v10, v[5:6]
	v_add_u32_e32 v11, 0x1b8, v26
	v_mad_u64_u32 v[19:20], s[0:1], s2, v11, 0
	v_add_co_u32_e32 v2, vcc, v0, v2
	v_addc_co_u32_e32 v3, vcc, v1, v3, vcc
	v_mov_b32_e32 v5, v10
	global_store_dwordx2 v[2:3], v[6:7], off
	v_lshlrev_b64 v[2:3], 3, v[4:5]
	v_mov_b32_e32 v4, v20
	v_mad_u64_u32 v[4:5], s[0:1], s3, v11, v[4:5]
	v_add_u32_e32 v6, 0x218, v26
	v_add_co_u32_e32 v2, vcc, v0, v2
	v_mov_b32_e32 v20, v4
	v_mad_u64_u32 v[4:5], s[0:1], s2, v6, 0
	v_addc_co_u32_e32 v3, vcc, v1, v3, vcc
	global_store_dwordx2 v[2:3], v[8:9], off
	v_mad_u64_u32 v[5:6], s[0:1], s3, v6, v[5:6]
	v_add_u32_e32 v8, 0x278, v26
	v_lshlrev_b64 v[2:3], 3, v[19:20]
	v_mad_u64_u32 v[6:7], s[0:1], s2, v8, 0
	v_add_co_u32_e32 v2, vcc, v0, v2
	v_addc_co_u32_e32 v3, vcc, v1, v3, vcc
	global_store_dwordx2 v[2:3], v[12:13], off
	v_lshlrev_b64 v[2:3], 3, v[4:5]
	v_mov_b32_e32 v4, v7
	v_mad_u64_u32 v[4:5], s[0:1], s3, v8, v[4:5]
	v_add_co_u32_e32 v2, vcc, v0, v2
	v_addc_co_u32_e32 v3, vcc, v1, v3, vcc
	v_mov_b32_e32 v7, v4
	global_store_dwordx2 v[2:3], v[14:15], off
	v_lshlrev_b64 v[2:3], 3, v[6:7]
	v_add_co_u32_e32 v0, vcc, v0, v2
	v_addc_co_u32_e32 v1, vcc, v1, v3, vcc
	global_store_dwordx2 v[0:1], v[17:18], off
.LBB0_20:
	s_endpgm
	.section	.rodata,"a",@progbits
	.p2align	6, 0x0
	.amdhsa_kernel fft_rtc_back_len672_factors_2_2_2_2_2_3_7_wgs_56_tpt_56_halfLds_sp_ip_CI_sbrr_dirReg
		.amdhsa_group_segment_fixed_size 0
		.amdhsa_private_segment_fixed_size 0
		.amdhsa_kernarg_size 88
		.amdhsa_user_sgpr_count 6
		.amdhsa_user_sgpr_private_segment_buffer 1
		.amdhsa_user_sgpr_dispatch_ptr 0
		.amdhsa_user_sgpr_queue_ptr 0
		.amdhsa_user_sgpr_kernarg_segment_ptr 1
		.amdhsa_user_sgpr_dispatch_id 0
		.amdhsa_user_sgpr_flat_scratch_init 0
		.amdhsa_user_sgpr_private_segment_size 0
		.amdhsa_uses_dynamic_stack 0
		.amdhsa_system_sgpr_private_segment_wavefront_offset 0
		.amdhsa_system_sgpr_workgroup_id_x 1
		.amdhsa_system_sgpr_workgroup_id_y 0
		.amdhsa_system_sgpr_workgroup_id_z 0
		.amdhsa_system_sgpr_workgroup_info 0
		.amdhsa_system_vgpr_workitem_id 0
		.amdhsa_next_free_vgpr 58
		.amdhsa_next_free_sgpr 24
		.amdhsa_reserve_vcc 1
		.amdhsa_reserve_flat_scratch 0
		.amdhsa_float_round_mode_32 0
		.amdhsa_float_round_mode_16_64 0
		.amdhsa_float_denorm_mode_32 3
		.amdhsa_float_denorm_mode_16_64 3
		.amdhsa_dx10_clamp 1
		.amdhsa_ieee_mode 1
		.amdhsa_fp16_overflow 0
		.amdhsa_exception_fp_ieee_invalid_op 0
		.amdhsa_exception_fp_denorm_src 0
		.amdhsa_exception_fp_ieee_div_zero 0
		.amdhsa_exception_fp_ieee_overflow 0
		.amdhsa_exception_fp_ieee_underflow 0
		.amdhsa_exception_fp_ieee_inexact 0
		.amdhsa_exception_int_div_zero 0
	.end_amdhsa_kernel
	.text
.Lfunc_end0:
	.size	fft_rtc_back_len672_factors_2_2_2_2_2_3_7_wgs_56_tpt_56_halfLds_sp_ip_CI_sbrr_dirReg, .Lfunc_end0-fft_rtc_back_len672_factors_2_2_2_2_2_3_7_wgs_56_tpt_56_halfLds_sp_ip_CI_sbrr_dirReg
                                        ; -- End function
	.section	.AMDGPU.csdata,"",@progbits
; Kernel info:
; codeLenInByte = 8408
; NumSgprs: 28
; NumVgprs: 58
; ScratchSize: 0
; MemoryBound: 0
; FloatMode: 240
; IeeeMode: 1
; LDSByteSize: 0 bytes/workgroup (compile time only)
; SGPRBlocks: 3
; VGPRBlocks: 14
; NumSGPRsForWavesPerEU: 28
; NumVGPRsForWavesPerEU: 58
; Occupancy: 4
; WaveLimiterHint : 1
; COMPUTE_PGM_RSRC2:SCRATCH_EN: 0
; COMPUTE_PGM_RSRC2:USER_SGPR: 6
; COMPUTE_PGM_RSRC2:TRAP_HANDLER: 0
; COMPUTE_PGM_RSRC2:TGID_X_EN: 1
; COMPUTE_PGM_RSRC2:TGID_Y_EN: 0
; COMPUTE_PGM_RSRC2:TGID_Z_EN: 0
; COMPUTE_PGM_RSRC2:TIDIG_COMP_CNT: 0
	.type	__hip_cuid_23f1e73677e37ea7,@object ; @__hip_cuid_23f1e73677e37ea7
	.section	.bss,"aw",@nobits
	.globl	__hip_cuid_23f1e73677e37ea7
__hip_cuid_23f1e73677e37ea7:
	.byte	0                               ; 0x0
	.size	__hip_cuid_23f1e73677e37ea7, 1

	.ident	"AMD clang version 19.0.0git (https://github.com/RadeonOpenCompute/llvm-project roc-6.4.0 25133 c7fe45cf4b819c5991fe208aaa96edf142730f1d)"
	.section	".note.GNU-stack","",@progbits
	.addrsig
	.addrsig_sym __hip_cuid_23f1e73677e37ea7
	.amdgpu_metadata
---
amdhsa.kernels:
  - .args:
      - .actual_access:  read_only
        .address_space:  global
        .offset:         0
        .size:           8
        .value_kind:     global_buffer
      - .offset:         8
        .size:           8
        .value_kind:     by_value
      - .actual_access:  read_only
        .address_space:  global
        .offset:         16
        .size:           8
        .value_kind:     global_buffer
      - .actual_access:  read_only
        .address_space:  global
        .offset:         24
        .size:           8
        .value_kind:     global_buffer
      - .offset:         32
        .size:           8
        .value_kind:     by_value
      - .actual_access:  read_only
        .address_space:  global
        .offset:         40
        .size:           8
        .value_kind:     global_buffer
      - .actual_access:  read_only
        .address_space:  global
        .offset:         48
        .size:           8
        .value_kind:     global_buffer
      - .offset:         56
        .size:           4
        .value_kind:     by_value
      - .actual_access:  read_only
        .address_space:  global
        .offset:         64
        .size:           8
        .value_kind:     global_buffer
      - .actual_access:  read_only
        .address_space:  global
        .offset:         72
        .size:           8
        .value_kind:     global_buffer
      - .address_space:  global
        .offset:         80
        .size:           8
        .value_kind:     global_buffer
    .group_segment_fixed_size: 0
    .kernarg_segment_align: 8
    .kernarg_segment_size: 88
    .language:       OpenCL C
    .language_version:
      - 2
      - 0
    .max_flat_workgroup_size: 56
    .name:           fft_rtc_back_len672_factors_2_2_2_2_2_3_7_wgs_56_tpt_56_halfLds_sp_ip_CI_sbrr_dirReg
    .private_segment_fixed_size: 0
    .sgpr_count:     28
    .sgpr_spill_count: 0
    .symbol:         fft_rtc_back_len672_factors_2_2_2_2_2_3_7_wgs_56_tpt_56_halfLds_sp_ip_CI_sbrr_dirReg.kd
    .uniform_work_group_size: 1
    .uses_dynamic_stack: false
    .vgpr_count:     58
    .vgpr_spill_count: 0
    .wavefront_size: 64
amdhsa.target:   amdgcn-amd-amdhsa--gfx906
amdhsa.version:
  - 1
  - 2
...

	.end_amdgpu_metadata
